;; amdgpu-corpus repo=ROCm/hip-tests kind=compiled arch=gfx1100 opt=O3
	.text
	.amdgcn_target "amdgcn-amd-amdhsa--gfx1100"
	.amdhsa_code_object_version 6
	.section	.text._ZL27kernel_cg_thread_block_typePiS_S_P4dim3S1_S1_,"axG",@progbits,_ZL27kernel_cg_thread_block_typePiS_S_P4dim3S1_S1_,comdat
	.globl	_ZL27kernel_cg_thread_block_typePiS_S_P4dim3S1_S1_ ; -- Begin function _ZL27kernel_cg_thread_block_typePiS_S_P4dim3S1_S1_
	.p2align	8
	.type	_ZL27kernel_cg_thread_block_typePiS_S_P4dim3S1_S1_,@function
_ZL27kernel_cg_thread_block_typePiS_S_P4dim3S1_S1_: ; @_ZL27kernel_cg_thread_block_typePiS_S_P4dim3S1_S1_
; %bb.0:
	s_clause 0x1
	s_load_b64 s[2:3], s[0:1], 0x3c
	s_load_b256 s[4:11], s[0:1], 0x0
	v_bfe_u32 v3, v0, 20, 10
	s_waitcnt lgkmcnt(0)
	s_and_b32 s12, s2, 0xffff
	s_lshr_b32 s17, s2, 16
	s_and_b32 s16, s3, 0xffff
	s_mul_i32 s18, s17, s12
	s_load_b128 s[0:3], s[0:1], 0x20
	s_mul_i32 s18, s18, s16
	s_delay_alu instid0(SALU_CYCLE_1) | instskip(NEXT) | instid1(VALU_DEP_1)
	v_dual_mov_b32 v12, s18 :: v_dual_and_b32 v1, 0x3ff, v0
	v_mad_u64_u32 v[4:5], null, s13, s12, v[1:2]
	v_bfe_u32 v2, v0, 10, 10
	s_delay_alu instid0(VALU_DEP_1) | instskip(NEXT) | instid1(VALU_DEP_3)
	v_mad_u32_u24 v0, v3, s17, v2
	v_ashrrev_i32_e32 v5, 31, v4
	s_delay_alu instid0(VALU_DEP_2) | instskip(NEXT) | instid1(VALU_DEP_2)
	v_mad_u64_u32 v[7:8], null, v0, s12, v[1:2]
	v_lshlrev_b64 v[5:6], 2, v[4:5]
	s_delay_alu instid0(VALU_DEP_1) | instskip(NEXT) | instid1(VALU_DEP_2)
	v_add_co_u32 v8, vcc_lo, s4, v5
	v_add_co_ci_u32_e32 v9, vcc_lo, s5, v6, vcc_lo
	v_add_co_u32 v10, vcc_lo, s6, v5
	v_add_co_ci_u32_e32 v11, vcc_lo, s7, v6, vcc_lo
	s_mov_b32 s4, exec_lo
	global_store_b32 v[8:9], v12, off
	global_store_b32 v[10:11], v7, off
	v_cmpx_lt_i32_e32 0, v1
	s_xor_b32 s4, exec_lo, s4
	s_cbranch_execz .LBB0_4
; %bb.1:
	s_mov_b32 s5, exec_lo
	v_cmpx_eq_u32_e32 1, v1
	s_cbranch_execz .LBB0_3
; %bb.2:
	v_dual_mov_b32 v0, 20 :: v_dual_mov_b32 v7, 0
	ds_store_b32 v7, v0 offset:4
.LBB0_3:
	s_or_b32 exec_lo, exec_lo, s5
.LBB0_4:
	s_and_not1_saveexec_b32 s4, s4
	s_cbranch_execz .LBB0_6
; %bb.5:
	v_dual_mov_b32 v0, 10 :: v_dual_mov_b32 v7, 0
	ds_store_b32 v7, v0
.LBB0_6:
	s_or_b32 exec_lo, exec_lo, s4
	v_mov_b32_e32 v0, 0
	s_waitcnt lgkmcnt(0)
	s_waitcnt_vscnt null, 0x0
	s_barrier
	buffer_gl0_inv
	v_add_co_u32 v12, vcc_lo, s8, v5
	v_mov_b32_e32 v5, s14
	ds_load_b64 v[10:11], v0
	v_mad_i64_i32 v[14:15], null, v4, 12, 0
	v_add_co_ci_u32_e32 v13, vcc_lo, s9, v6, vcc_lo
	v_dual_mov_b32 v4, s13 :: v_dual_mov_b32 v7, s12
	v_dual_mov_b32 v6, s15 :: v_dual_mov_b32 v9, s16
	s_delay_alu instid0(VALU_DEP_4)
	v_add_co_u32 v16, vcc_lo, s10, v14
	v_add_co_ci_u32_e32 v17, vcc_lo, s11, v15, vcc_lo
	v_mov_b32_e32 v8, s17
	s_waitcnt lgkmcnt(0)
	v_mul_lo_u32 v0, v10, v11
	v_add_co_u32 v10, vcc_lo, s0, v14
	v_add_co_ci_u32_e32 v11, vcc_lo, s1, v15, vcc_lo
	v_add_co_u32 v14, vcc_lo, s2, v14
	v_add_co_ci_u32_e32 v15, vcc_lo, s3, v15, vcc_lo
	global_store_b32 v[12:13], v0, off
	global_store_b96 v[16:17], v[4:6], off
	global_store_b96 v[10:11], v[1:3], off
	;; [unrolled: 1-line block ×3, first 2 shown]
	s_nop 0
	s_sendmsg sendmsg(MSG_DEALLOC_VGPRS)
	s_endpgm
	.section	.rodata,"a",@progbits
	.p2align	6, 0x0
	.amdhsa_kernel _ZL27kernel_cg_thread_block_typePiS_S_P4dim3S1_S1_
		.amdhsa_group_segment_fixed_size 8
		.amdhsa_private_segment_fixed_size 0
		.amdhsa_kernarg_size 304
		.amdhsa_user_sgpr_count 13
		.amdhsa_user_sgpr_dispatch_ptr 0
		.amdhsa_user_sgpr_queue_ptr 0
		.amdhsa_user_sgpr_kernarg_segment_ptr 1
		.amdhsa_user_sgpr_dispatch_id 0
		.amdhsa_user_sgpr_private_segment_size 0
		.amdhsa_wavefront_size32 1
		.amdhsa_uses_dynamic_stack 0
		.amdhsa_enable_private_segment 0
		.amdhsa_system_sgpr_workgroup_id_x 1
		.amdhsa_system_sgpr_workgroup_id_y 1
		.amdhsa_system_sgpr_workgroup_id_z 1
		.amdhsa_system_sgpr_workgroup_info 0
		.amdhsa_system_vgpr_workitem_id 2
		.amdhsa_next_free_vgpr 18
		.amdhsa_next_free_sgpr 19
		.amdhsa_reserve_vcc 1
		.amdhsa_float_round_mode_32 0
		.amdhsa_float_round_mode_16_64 0
		.amdhsa_float_denorm_mode_32 3
		.amdhsa_float_denorm_mode_16_64 3
		.amdhsa_dx10_clamp 1
		.amdhsa_ieee_mode 1
		.amdhsa_fp16_overflow 0
		.amdhsa_workgroup_processor_mode 1
		.amdhsa_memory_ordered 1
		.amdhsa_forward_progress 0
		.amdhsa_shared_vgpr_count 0
		.amdhsa_exception_fp_ieee_invalid_op 0
		.amdhsa_exception_fp_denorm_src 0
		.amdhsa_exception_fp_ieee_div_zero 0
		.amdhsa_exception_fp_ieee_overflow 0
		.amdhsa_exception_fp_ieee_underflow 0
		.amdhsa_exception_fp_ieee_inexact 0
		.amdhsa_exception_int_div_zero 0
	.end_amdhsa_kernel
	.section	.text._ZL27kernel_cg_thread_block_typePiS_S_P4dim3S1_S1_,"axG",@progbits,_ZL27kernel_cg_thread_block_typePiS_S_P4dim3S1_S1_,comdat
.Lfunc_end0:
	.size	_ZL27kernel_cg_thread_block_typePiS_S_P4dim3S1_S1_, .Lfunc_end0-_ZL27kernel_cg_thread_block_typePiS_S_P4dim3S1_S1_
                                        ; -- End function
	.section	.AMDGPU.csdata,"",@progbits
; Kernel info:
; codeLenInByte = 428
; NumSgprs: 21
; NumVgprs: 18
; ScratchSize: 0
; MemoryBound: 0
; FloatMode: 240
; IeeeMode: 1
; LDSByteSize: 8 bytes/workgroup (compile time only)
; SGPRBlocks: 2
; VGPRBlocks: 2
; NumSGPRsForWavesPerEU: 21
; NumVGPRsForWavesPerEU: 18
; Occupancy: 16
; WaveLimiterHint : 0
; COMPUTE_PGM_RSRC2:SCRATCH_EN: 0
; COMPUTE_PGM_RSRC2:USER_SGPR: 13
; COMPUTE_PGM_RSRC2:TRAP_HANDLER: 0
; COMPUTE_PGM_RSRC2:TGID_X_EN: 1
; COMPUTE_PGM_RSRC2:TGID_Y_EN: 1
; COMPUTE_PGM_RSRC2:TGID_Z_EN: 1
; COMPUTE_PGM_RSRC2:TIDIG_COMP_CNT: 2
	.section	.text._ZL41kernel_cg_thread_block_type_via_base_typePiS_S_,"axG",@progbits,_ZL41kernel_cg_thread_block_type_via_base_typePiS_S_,comdat
	.globl	_ZL41kernel_cg_thread_block_type_via_base_typePiS_S_ ; -- Begin function _ZL41kernel_cg_thread_block_type_via_base_typePiS_S_
	.p2align	8
	.type	_ZL41kernel_cg_thread_block_type_via_base_typePiS_S_,@function
_ZL41kernel_cg_thread_block_type_via_base_typePiS_S_: ; @_ZL41kernel_cg_thread_block_type_via_base_typePiS_S_
; %bb.0:
	s_clause 0x1
	s_load_b64 s[2:3], s[0:1], 0x24
	s_load_b128 s[4:7], s[0:1], 0x0
	v_and_b32_e32 v2, 0x3ff, v0
	s_load_b64 s[0:1], s[0:1], 0x10
	v_bfe_u32 v1, v0, 10, 10
	v_bfe_u32 v0, v0, 20, 10
	s_waitcnt lgkmcnt(0)
	s_and_b32 s8, s2, 0xffff
	s_lshr_b32 s2, s2, 16
	v_mad_u64_u32 v[3:4], null, s15, s8, v[2:3]
	v_mad_u32_u24 v5, v0, s2, v1
	s_and_b32 s3, s3, 0xffff
	s_mul_i32 s9, s2, s8
	s_delay_alu instid0(SALU_CYCLE_1) | instskip(NEXT) | instid1(SALU_CYCLE_1)
	s_mul_i32 s2, s9, s3
	v_mov_b32_e32 v8, s2
	s_delay_alu instid0(VALU_DEP_3) | instskip(SKIP_1) | instid1(VALU_DEP_1)
	v_ashrrev_i32_e32 v4, 31, v3
	s_mov_b32 s2, exec_lo
	v_lshlrev_b64 v[0:1], 2, v[3:4]
	v_mad_u64_u32 v[3:4], null, v5, s8, v[2:3]
	s_delay_alu instid0(VALU_DEP_2) | instskip(NEXT) | instid1(VALU_DEP_3)
	v_add_co_u32 v4, vcc_lo, s4, v0
	v_add_co_ci_u32_e32 v5, vcc_lo, s5, v1, vcc_lo
	v_add_co_u32 v6, vcc_lo, s6, v0
	v_add_co_ci_u32_e32 v7, vcc_lo, s7, v1, vcc_lo
	global_store_b32 v[4:5], v8, off
	global_store_b32 v[6:7], v3, off
	v_cmpx_lt_i32_e32 0, v2
	s_xor_b32 s2, exec_lo, s2
	s_cbranch_execz .LBB1_4
; %bb.1:
	s_mov_b32 s3, exec_lo
	v_cmpx_eq_u32_e32 1, v2
	s_cbranch_execz .LBB1_3
; %bb.2:
	v_dual_mov_b32 v2, 20 :: v_dual_mov_b32 v3, 0
	ds_store_b32 v3, v2 offset:4
.LBB1_3:
	s_or_b32 exec_lo, exec_lo, s3
.LBB1_4:
	s_and_not1_saveexec_b32 s2, s2
	s_cbranch_execz .LBB1_6
; %bb.5:
	v_dual_mov_b32 v2, 10 :: v_dual_mov_b32 v3, 0
	ds_store_b32 v3, v2
.LBB1_6:
	s_or_b32 exec_lo, exec_lo, s2
	v_mov_b32_e32 v2, 0
	s_waitcnt lgkmcnt(0)
	s_waitcnt_vscnt null, 0x0
	s_barrier
	buffer_gl0_inv
	v_add_co_u32 v0, vcc_lo, s0, v0
	ds_load_b64 v[2:3], v2
	v_add_co_ci_u32_e32 v1, vcc_lo, s1, v1, vcc_lo
	s_waitcnt lgkmcnt(0)
	v_mul_lo_u32 v2, v2, v3
	global_store_b32 v[0:1], v2, off
	s_nop 0
	s_sendmsg sendmsg(MSG_DEALLOC_VGPRS)
	s_endpgm
	.section	.rodata,"a",@progbits
	.p2align	6, 0x0
	.amdhsa_kernel _ZL41kernel_cg_thread_block_type_via_base_typePiS_S_
		.amdhsa_group_segment_fixed_size 8
		.amdhsa_private_segment_fixed_size 0
		.amdhsa_kernarg_size 280
		.amdhsa_user_sgpr_count 15
		.amdhsa_user_sgpr_dispatch_ptr 0
		.amdhsa_user_sgpr_queue_ptr 0
		.amdhsa_user_sgpr_kernarg_segment_ptr 1
		.amdhsa_user_sgpr_dispatch_id 0
		.amdhsa_user_sgpr_private_segment_size 0
		.amdhsa_wavefront_size32 1
		.amdhsa_uses_dynamic_stack 0
		.amdhsa_enable_private_segment 0
		.amdhsa_system_sgpr_workgroup_id_x 1
		.amdhsa_system_sgpr_workgroup_id_y 0
		.amdhsa_system_sgpr_workgroup_id_z 0
		.amdhsa_system_sgpr_workgroup_info 0
		.amdhsa_system_vgpr_workitem_id 2
		.amdhsa_next_free_vgpr 9
		.amdhsa_next_free_sgpr 16
		.amdhsa_reserve_vcc 1
		.amdhsa_float_round_mode_32 0
		.amdhsa_float_round_mode_16_64 0
		.amdhsa_float_denorm_mode_32 3
		.amdhsa_float_denorm_mode_16_64 3
		.amdhsa_dx10_clamp 1
		.amdhsa_ieee_mode 1
		.amdhsa_fp16_overflow 0
		.amdhsa_workgroup_processor_mode 1
		.amdhsa_memory_ordered 1
		.amdhsa_forward_progress 0
		.amdhsa_shared_vgpr_count 0
		.amdhsa_exception_fp_ieee_invalid_op 0
		.amdhsa_exception_fp_denorm_src 0
		.amdhsa_exception_fp_ieee_div_zero 0
		.amdhsa_exception_fp_ieee_overflow 0
		.amdhsa_exception_fp_ieee_underflow 0
		.amdhsa_exception_fp_ieee_inexact 0
		.amdhsa_exception_int_div_zero 0
	.end_amdhsa_kernel
	.section	.text._ZL41kernel_cg_thread_block_type_via_base_typePiS_S_,"axG",@progbits,_ZL41kernel_cg_thread_block_type_via_base_typePiS_S_,comdat
.Lfunc_end1:
	.size	_ZL41kernel_cg_thread_block_type_via_base_typePiS_S_, .Lfunc_end1-_ZL41kernel_cg_thread_block_type_via_base_typePiS_S_
                                        ; -- End function
	.section	.AMDGPU.csdata,"",@progbits
; Kernel info:
; codeLenInByte = 328
; NumSgprs: 18
; NumVgprs: 9
; ScratchSize: 0
; MemoryBound: 0
; FloatMode: 240
; IeeeMode: 1
; LDSByteSize: 8 bytes/workgroup (compile time only)
; SGPRBlocks: 2
; VGPRBlocks: 1
; NumSGPRsForWavesPerEU: 18
; NumVGPRsForWavesPerEU: 9
; Occupancy: 16
; WaveLimiterHint : 0
; COMPUTE_PGM_RSRC2:SCRATCH_EN: 0
; COMPUTE_PGM_RSRC2:USER_SGPR: 15
; COMPUTE_PGM_RSRC2:TRAP_HANDLER: 0
; COMPUTE_PGM_RSRC2:TGID_X_EN: 1
; COMPUTE_PGM_RSRC2:TGID_Y_EN: 0
; COMPUTE_PGM_RSRC2:TGID_Z_EN: 0
; COMPUTE_PGM_RSRC2:TIDIG_COMP_CNT: 2
	.section	.text._ZL42kernel_cg_thread_block_type_via_public_apiPiS_S_,"axG",@progbits,_ZL42kernel_cg_thread_block_type_via_public_apiPiS_S_,comdat
	.globl	_ZL42kernel_cg_thread_block_type_via_public_apiPiS_S_ ; -- Begin function _ZL42kernel_cg_thread_block_type_via_public_apiPiS_S_
	.p2align	8
	.type	_ZL42kernel_cg_thread_block_type_via_public_apiPiS_S_,@function
_ZL42kernel_cg_thread_block_type_via_public_apiPiS_S_: ; @_ZL42kernel_cg_thread_block_type_via_public_apiPiS_S_
; %bb.0:
	s_clause 0x1
	s_load_b64 s[2:3], s[0:1], 0x24
	s_load_b128 s[4:7], s[0:1], 0x0
	v_and_b32_e32 v2, 0x3ff, v0
	s_load_b64 s[0:1], s[0:1], 0x10
	v_bfe_u32 v1, v0, 10, 10
	v_bfe_u32 v0, v0, 20, 10
	s_waitcnt lgkmcnt(0)
	s_and_b32 s8, s2, 0xffff
	s_lshr_b32 s2, s2, 16
	v_mad_u64_u32 v[3:4], null, s15, s8, v[2:3]
	v_mad_u32_u24 v5, v0, s2, v1
	s_and_b32 s3, s3, 0xffff
	s_mul_i32 s9, s2, s8
	s_delay_alu instid0(SALU_CYCLE_1) | instskip(NEXT) | instid1(SALU_CYCLE_1)
	s_mul_i32 s2, s9, s3
	v_mov_b32_e32 v8, s2
	s_delay_alu instid0(VALU_DEP_3) | instskip(SKIP_1) | instid1(VALU_DEP_1)
	v_ashrrev_i32_e32 v4, 31, v3
	s_mov_b32 s2, exec_lo
	v_lshlrev_b64 v[0:1], 2, v[3:4]
	v_mad_u64_u32 v[3:4], null, v5, s8, v[2:3]
	s_delay_alu instid0(VALU_DEP_2) | instskip(NEXT) | instid1(VALU_DEP_3)
	v_add_co_u32 v4, vcc_lo, s4, v0
	v_add_co_ci_u32_e32 v5, vcc_lo, s5, v1, vcc_lo
	v_add_co_u32 v6, vcc_lo, s6, v0
	v_add_co_ci_u32_e32 v7, vcc_lo, s7, v1, vcc_lo
	global_store_b32 v[4:5], v8, off
	global_store_b32 v[6:7], v3, off
	v_cmpx_lt_i32_e32 0, v2
	s_xor_b32 s2, exec_lo, s2
	s_cbranch_execz .LBB2_4
; %bb.1:
	s_mov_b32 s3, exec_lo
	v_cmpx_eq_u32_e32 1, v2
	s_cbranch_execz .LBB2_3
; %bb.2:
	v_dual_mov_b32 v2, 20 :: v_dual_mov_b32 v3, 0
	ds_store_b32 v3, v2 offset:4
.LBB2_3:
	s_or_b32 exec_lo, exec_lo, s3
.LBB2_4:
	s_and_not1_saveexec_b32 s2, s2
	s_cbranch_execz .LBB2_6
; %bb.5:
	v_dual_mov_b32 v2, 10 :: v_dual_mov_b32 v3, 0
	ds_store_b32 v3, v2
.LBB2_6:
	s_or_b32 exec_lo, exec_lo, s2
	v_mov_b32_e32 v2, 0
	s_waitcnt lgkmcnt(0)
	s_waitcnt_vscnt null, 0x0
	s_barrier
	buffer_gl0_inv
	v_add_co_u32 v0, vcc_lo, s0, v0
	ds_load_b64 v[2:3], v2
	v_add_co_ci_u32_e32 v1, vcc_lo, s1, v1, vcc_lo
	s_waitcnt lgkmcnt(0)
	v_mul_lo_u32 v2, v2, v3
	global_store_b32 v[0:1], v2, off
	s_nop 0
	s_sendmsg sendmsg(MSG_DEALLOC_VGPRS)
	s_endpgm
	.section	.rodata,"a",@progbits
	.p2align	6, 0x0
	.amdhsa_kernel _ZL42kernel_cg_thread_block_type_via_public_apiPiS_S_
		.amdhsa_group_segment_fixed_size 8
		.amdhsa_private_segment_fixed_size 0
		.amdhsa_kernarg_size 280
		.amdhsa_user_sgpr_count 15
		.amdhsa_user_sgpr_dispatch_ptr 0
		.amdhsa_user_sgpr_queue_ptr 0
		.amdhsa_user_sgpr_kernarg_segment_ptr 1
		.amdhsa_user_sgpr_dispatch_id 0
		.amdhsa_user_sgpr_private_segment_size 0
		.amdhsa_wavefront_size32 1
		.amdhsa_uses_dynamic_stack 0
		.amdhsa_enable_private_segment 0
		.amdhsa_system_sgpr_workgroup_id_x 1
		.amdhsa_system_sgpr_workgroup_id_y 0
		.amdhsa_system_sgpr_workgroup_id_z 0
		.amdhsa_system_sgpr_workgroup_info 0
		.amdhsa_system_vgpr_workitem_id 2
		.amdhsa_next_free_vgpr 9
		.amdhsa_next_free_sgpr 16
		.amdhsa_reserve_vcc 1
		.amdhsa_float_round_mode_32 0
		.amdhsa_float_round_mode_16_64 0
		.amdhsa_float_denorm_mode_32 3
		.amdhsa_float_denorm_mode_16_64 3
		.amdhsa_dx10_clamp 1
		.amdhsa_ieee_mode 1
		.amdhsa_fp16_overflow 0
		.amdhsa_workgroup_processor_mode 1
		.amdhsa_memory_ordered 1
		.amdhsa_forward_progress 0
		.amdhsa_shared_vgpr_count 0
		.amdhsa_exception_fp_ieee_invalid_op 0
		.amdhsa_exception_fp_denorm_src 0
		.amdhsa_exception_fp_ieee_div_zero 0
		.amdhsa_exception_fp_ieee_overflow 0
		.amdhsa_exception_fp_ieee_underflow 0
		.amdhsa_exception_fp_ieee_inexact 0
		.amdhsa_exception_int_div_zero 0
	.end_amdhsa_kernel
	.section	.text._ZL42kernel_cg_thread_block_type_via_public_apiPiS_S_,"axG",@progbits,_ZL42kernel_cg_thread_block_type_via_public_apiPiS_S_,comdat
.Lfunc_end2:
	.size	_ZL42kernel_cg_thread_block_type_via_public_apiPiS_S_, .Lfunc_end2-_ZL42kernel_cg_thread_block_type_via_public_apiPiS_S_
                                        ; -- End function
	.section	.AMDGPU.csdata,"",@progbits
; Kernel info:
; codeLenInByte = 328
; NumSgprs: 18
; NumVgprs: 9
; ScratchSize: 0
; MemoryBound: 0
; FloatMode: 240
; IeeeMode: 1
; LDSByteSize: 8 bytes/workgroup (compile time only)
; SGPRBlocks: 2
; VGPRBlocks: 1
; NumSGPRsForWavesPerEU: 18
; NumVGPRsForWavesPerEU: 9
; Occupancy: 16
; WaveLimiterHint : 0
; COMPUTE_PGM_RSRC2:SCRATCH_EN: 0
; COMPUTE_PGM_RSRC2:USER_SGPR: 15
; COMPUTE_PGM_RSRC2:TRAP_HANDLER: 0
; COMPUTE_PGM_RSRC2:TGID_X_EN: 1
; COMPUTE_PGM_RSRC2:TGID_Y_EN: 0
; COMPUTE_PGM_RSRC2:TGID_Z_EN: 0
; COMPUTE_PGM_RSRC2:TIDIG_COMP_CNT: 2
	.text
	.p2alignl 7, 3214868480
	.fill 96, 4, 3214868480
	.type	__hip_cuid_78e525cac5ef3f87,@object ; @__hip_cuid_78e525cac5ef3f87
	.section	.bss,"aw",@nobits
	.globl	__hip_cuid_78e525cac5ef3f87
__hip_cuid_78e525cac5ef3f87:
	.byte	0                               ; 0x0
	.size	__hip_cuid_78e525cac5ef3f87, 1

	.ident	"AMD clang version 19.0.0git (https://github.com/RadeonOpenCompute/llvm-project roc-6.4.0 25133 c7fe45cf4b819c5991fe208aaa96edf142730f1d)"
	.section	".note.GNU-stack","",@progbits
	.addrsig
	.addrsig_sym __hip_cuid_78e525cac5ef3f87
	.amdgpu_metadata
---
amdhsa.kernels:
  - .args:
      - .address_space:  global
        .offset:         0
        .size:           8
        .value_kind:     global_buffer
      - .address_space:  global
        .offset:         8
        .size:           8
        .value_kind:     global_buffer
      - .address_space:  global
        .offset:         16
        .size:           8
        .value_kind:     global_buffer
      - .address_space:  global
        .offset:         24
        .size:           8
        .value_kind:     global_buffer
      - .address_space:  global
        .offset:         32
        .size:           8
        .value_kind:     global_buffer
      - .address_space:  global
        .offset:         40
        .size:           8
        .value_kind:     global_buffer
      - .offset:         48
        .size:           4
        .value_kind:     hidden_block_count_x
      - .offset:         52
        .size:           4
        .value_kind:     hidden_block_count_y
      - .offset:         56
        .size:           4
        .value_kind:     hidden_block_count_z
      - .offset:         60
        .size:           2
        .value_kind:     hidden_group_size_x
      - .offset:         62
        .size:           2
        .value_kind:     hidden_group_size_y
      - .offset:         64
        .size:           2
        .value_kind:     hidden_group_size_z
      - .offset:         66
        .size:           2
        .value_kind:     hidden_remainder_x
      - .offset:         68
        .size:           2
        .value_kind:     hidden_remainder_y
      - .offset:         70
        .size:           2
        .value_kind:     hidden_remainder_z
      - .offset:         88
        .size:           8
        .value_kind:     hidden_global_offset_x
      - .offset:         96
        .size:           8
        .value_kind:     hidden_global_offset_y
      - .offset:         104
        .size:           8
        .value_kind:     hidden_global_offset_z
      - .offset:         112
        .size:           2
        .value_kind:     hidden_grid_dims
    .group_segment_fixed_size: 8
    .kernarg_segment_align: 8
    .kernarg_segment_size: 304
    .language:       OpenCL C
    .language_version:
      - 2
      - 0
    .max_flat_workgroup_size: 1024
    .name:           _ZL27kernel_cg_thread_block_typePiS_S_P4dim3S1_S1_
    .private_segment_fixed_size: 0
    .sgpr_count:     21
    .sgpr_spill_count: 0
    .symbol:         _ZL27kernel_cg_thread_block_typePiS_S_P4dim3S1_S1_.kd
    .uniform_work_group_size: 1
    .uses_dynamic_stack: false
    .vgpr_count:     18
    .vgpr_spill_count: 0
    .wavefront_size: 32
    .workgroup_processor_mode: 1
  - .args:
      - .address_space:  global
        .offset:         0
        .size:           8
        .value_kind:     global_buffer
      - .address_space:  global
        .offset:         8
        .size:           8
        .value_kind:     global_buffer
      - .address_space:  global
        .offset:         16
        .size:           8
        .value_kind:     global_buffer
      - .offset:         24
        .size:           4
        .value_kind:     hidden_block_count_x
      - .offset:         28
        .size:           4
        .value_kind:     hidden_block_count_y
      - .offset:         32
        .size:           4
        .value_kind:     hidden_block_count_z
      - .offset:         36
        .size:           2
        .value_kind:     hidden_group_size_x
      - .offset:         38
        .size:           2
        .value_kind:     hidden_group_size_y
      - .offset:         40
        .size:           2
        .value_kind:     hidden_group_size_z
      - .offset:         42
        .size:           2
        .value_kind:     hidden_remainder_x
      - .offset:         44
        .size:           2
        .value_kind:     hidden_remainder_y
      - .offset:         46
        .size:           2
        .value_kind:     hidden_remainder_z
      - .offset:         64
        .size:           8
        .value_kind:     hidden_global_offset_x
      - .offset:         72
        .size:           8
        .value_kind:     hidden_global_offset_y
      - .offset:         80
        .size:           8
        .value_kind:     hidden_global_offset_z
      - .offset:         88
        .size:           2
        .value_kind:     hidden_grid_dims
    .group_segment_fixed_size: 8
    .kernarg_segment_align: 8
    .kernarg_segment_size: 280
    .language:       OpenCL C
    .language_version:
      - 2
      - 0
    .max_flat_workgroup_size: 1024
    .name:           _ZL41kernel_cg_thread_block_type_via_base_typePiS_S_
    .private_segment_fixed_size: 0
    .sgpr_count:     18
    .sgpr_spill_count: 0
    .symbol:         _ZL41kernel_cg_thread_block_type_via_base_typePiS_S_.kd
    .uniform_work_group_size: 1
    .uses_dynamic_stack: false
    .vgpr_count:     9
    .vgpr_spill_count: 0
    .wavefront_size: 32
    .workgroup_processor_mode: 1
  - .args:
      - .address_space:  global
        .offset:         0
        .size:           8
        .value_kind:     global_buffer
      - .address_space:  global
        .offset:         8
        .size:           8
        .value_kind:     global_buffer
      - .address_space:  global
        .offset:         16
        .size:           8
        .value_kind:     global_buffer
      - .offset:         24
        .size:           4
        .value_kind:     hidden_block_count_x
      - .offset:         28
        .size:           4
        .value_kind:     hidden_block_count_y
      - .offset:         32
        .size:           4
        .value_kind:     hidden_block_count_z
      - .offset:         36
        .size:           2
        .value_kind:     hidden_group_size_x
      - .offset:         38
        .size:           2
        .value_kind:     hidden_group_size_y
      - .offset:         40
        .size:           2
        .value_kind:     hidden_group_size_z
      - .offset:         42
        .size:           2
        .value_kind:     hidden_remainder_x
      - .offset:         44
        .size:           2
        .value_kind:     hidden_remainder_y
      - .offset:         46
        .size:           2
        .value_kind:     hidden_remainder_z
      - .offset:         64
        .size:           8
        .value_kind:     hidden_global_offset_x
      - .offset:         72
        .size:           8
        .value_kind:     hidden_global_offset_y
      - .offset:         80
        .size:           8
        .value_kind:     hidden_global_offset_z
      - .offset:         88
        .size:           2
        .value_kind:     hidden_grid_dims
    .group_segment_fixed_size: 8
    .kernarg_segment_align: 8
    .kernarg_segment_size: 280
    .language:       OpenCL C
    .language_version:
      - 2
      - 0
    .max_flat_workgroup_size: 1024
    .name:           _ZL42kernel_cg_thread_block_type_via_public_apiPiS_S_
    .private_segment_fixed_size: 0
    .sgpr_count:     18
    .sgpr_spill_count: 0
    .symbol:         _ZL42kernel_cg_thread_block_type_via_public_apiPiS_S_.kd
    .uniform_work_group_size: 1
    .uses_dynamic_stack: false
    .vgpr_count:     9
    .vgpr_spill_count: 0
    .wavefront_size: 32
    .workgroup_processor_mode: 1
amdhsa.target:   amdgcn-amd-amdhsa--gfx1100
amdhsa.version:
  - 1
  - 2
...

	.end_amdgpu_metadata
